;; amdgpu-corpus repo=zjin-lcf/HeCBench kind=compiled arch=gfx1100 opt=O3
	.text
	.amdgcn_target "amdgcn-amd-amdhsa--gfx1100"
	.amdhsa_code_object_version 6
	.protected	_Z14kernelGuidancePK15HIP_vector_typeIhLj3EEPS0_6Params ; -- Begin function _Z14kernelGuidancePK15HIP_vector_typeIhLj3EEPS0_6Params
	.globl	_Z14kernelGuidancePK15HIP_vector_typeIhLj3EEPS0_6Params
	.p2align	8
	.type	_Z14kernelGuidancePK15HIP_vector_typeIhLj3EEPS0_6Params,@function
_Z14kernelGuidancePK15HIP_vector_typeIhLj3EEPS0_6Params: ; @_Z14kernelGuidancePK15HIP_vector_typeIhLj3EEPS0_6Params
; %bb.0:
	s_load_b32 s8, s[0:1], 0x10
	v_lshrrev_b32_e32 v1, 5, v0
	s_add_u32 s2, s0, 16
	s_addc_u32 s3, s1, 0
	s_mov_b32 s4, exec_lo
	s_delay_alu instid0(VALU_DEP_1) | instskip(SKIP_1) | instid1(VALU_DEP_1)
	v_lshl_add_u32 v1, s14, 2, v1
	s_waitcnt lgkmcnt(0)
	v_cmpx_gt_u32_e64 s8, v1
	s_cbranch_execz .LBB0_8
; %bb.1:
	s_load_b32 s4, s[0:1], 0x14
	s_waitcnt lgkmcnt(0)
	s_cmp_ge_u32 s15, s4
	s_cbranch_scc1 .LBB0_8
; %bb.2:
	s_load_b128 s[4:7], s[2:3], 0x8
	v_cvt_f32_u32_e32 v3, v1
	v_add_nc_u32_e32 v2, 1, v1
	s_add_i32 s2, s15, 1
	v_cvt_f32_u32_e32 v4, s15
	v_cvt_f32_u32_e32 v5, s2
	v_and_b32_e32 v8, 31, v0
	v_dual_mov_b32 v16, 0 :: v_dual_mov_b32 v15, 0
	s_waitcnt lgkmcnt(0)
	v_mul_f32_e32 v3, s6, v3
	v_cvt_f32_u32_e32 v2, v2
	v_cvt_f32_u32_e32 v6, s4
	v_dual_mul_f32 v4, s7, v4 :: v_dual_mul_f32 v5, s7, v5
	s_delay_alu instid0(VALU_DEP_3) | instskip(SKIP_1) | instid1(VALU_DEP_3)
	v_dual_max_f32 v9, 0, v3 :: v_dual_mul_f32 v2, s6, v2
	v_cvt_f32_u32_e32 v7, s5
	v_max_f32_e32 v10, 0, v4
	s_mov_b32 s6, 0
	s_mov_b32 s5, exec_lo
	s_delay_alu instid0(VALU_DEP_2) | instskip(SKIP_2) | instid1(VALU_DEP_3)
	v_dual_min_f32 v11, v2, v6 :: v_dual_min_f32 v12, v5, v7
	v_floor_f32_e32 v2, v9
	v_floor_f32_e32 v3, v10
	v_ceil_f32_e32 v4, v11
	s_delay_alu instid0(VALU_DEP_4) | instskip(NEXT) | instid1(VALU_DEP_4)
	v_ceil_f32_e32 v5, v12
	v_cvt_u32_f32_e32 v13, v2
	s_delay_alu instid0(VALU_DEP_4) | instskip(NEXT) | instid1(VALU_DEP_4)
	v_cvt_u32_f32_e32 v14, v3
	v_cvt_u32_f32_e32 v2, v4
	s_delay_alu instid0(VALU_DEP_4) | instskip(NEXT) | instid1(VALU_DEP_2)
	v_cvt_u32_f32_e32 v3, v5
	v_sub_nc_u32_e32 v17, v2, v13
	s_delay_alu instid0(VALU_DEP_2) | instskip(SKIP_1) | instid1(VALU_DEP_2)
	v_sub_nc_u32_e32 v2, v3, v14
	v_mov_b32_e32 v3, 0
	v_mul_lo_u32 v18, v2, v17
	v_mov_b32_e32 v2, 0
	s_delay_alu instid0(VALU_DEP_2)
	v_cmpx_lt_u32_e64 v8, v18
	s_cbranch_execz .LBB0_6
; %bb.3:
	v_cvt_f32_u32_e32 v2, v17
	v_sub_nc_u32_e32 v19, 0, v17
	s_load_b64 s[2:3], s[0:1], 0x0
	s_delay_alu instid0(VALU_DEP_2) | instskip(SKIP_2) | instid1(VALU_DEP_1)
	v_rcp_iflag_f32_e32 v2, v2
	s_waitcnt_depctr 0xfff
	v_mul_f32_e32 v2, 0x4f7ffffe, v2
	v_cvt_u32_f32_e32 v2, v2
	s_delay_alu instid0(VALU_DEP_1) | instskip(NEXT) | instid1(VALU_DEP_1)
	v_mul_lo_u32 v3, v19, v2
	v_mul_hi_u32 v3, v2, v3
	s_delay_alu instid0(VALU_DEP_1) | instskip(NEXT) | instid1(VALU_DEP_1)
	v_dual_mov_b32 v3, 0 :: v_dual_add_nc_u32 v2, v2, v3
	v_dual_mov_b32 v15, v3 :: v_dual_and_b32 v0, 31, v0
	s_delay_alu instid0(VALU_DEP_1)
	v_mad_u64_u32 v[4:5], null, v2, v0, 0
	v_lshlrev_b64 v[6:7], 5, v[2:3]
	v_mov_b32_e32 v0, v8
	v_mov_b32_e32 v16, v3
	;; [unrolled: 1-line block ×3, first 2 shown]
.LBB0_4:                                ; =>This Inner Loop Header: Depth=1
	v_not_b32_e32 v23, v5
	s_delay_alu instid0(VALU_DEP_4) | instskip(SKIP_1) | instid1(VALU_DEP_3)
	v_mad_u64_u32 v[20:21], null, v19, v5, v[0:1]
	v_add_nc_u32_e32 v24, 1, v5
	v_mad_u64_u32 v[21:22], null, v17, v23, v[0:1]
	s_delay_alu instid0(VALU_DEP_3) | instskip(NEXT) | instid1(VALU_DEP_3)
	v_cmp_ge_u32_e32 vcc_lo, v20, v17
	v_cndmask_b32_e32 v22, v5, v24, vcc_lo
	s_delay_alu instid0(VALU_DEP_1) | instskip(NEXT) | instid1(VALU_DEP_1)
	v_dual_cndmask_b32 v20, v20, v21 :: v_dual_add_nc_u32 v21, 1, v22
	v_cmp_ge_u32_e32 vcc_lo, v20, v17
	s_delay_alu instid0(VALU_DEP_2) | instskip(SKIP_2) | instid1(VALU_DEP_3)
	v_cndmask_b32_e32 v20, v22, v21, vcc_lo
	v_add_co_u32 v4, vcc_lo, v4, v6
	v_add_co_ci_u32_e32 v5, vcc_lo, v5, v7, vcc_lo
	v_mul_lo_u32 v21, v19, v20
	v_add_nc_u32_e32 v24, v20, v14
	s_delay_alu instid0(VALU_DEP_2) | instskip(SKIP_1) | instid1(VALU_DEP_2)
	v_add3_u32 v20, v13, v0, v21
	v_add_nc_u32_e32 v0, 32, v0
	v_mad_u64_u32 v[21:22], null, v24, s4, v[20:21]
	v_cvt_f32_u32_e32 v20, v20
	s_delay_alu instid0(VALU_DEP_1) | instskip(SKIP_1) | instid1(VALU_DEP_3)
	v_sub_f32_e32 v27, v20, v9
	s_waitcnt lgkmcnt(0)
	v_mad_u64_u32 v[22:23], null, v21, 3, s[2:3]
	v_cmp_gt_f32_e32 vcc_lo, v9, v20
	s_clause 0x1
	global_load_u16 v21, v[22:23], off
	global_load_u8 v22, v[22:23], off offset:2
	v_add_f32_e32 v27, 1.0, v27
	s_delay_alu instid0(VALU_DEP_1) | instskip(SKIP_1) | instid1(VALU_DEP_1)
	v_cndmask_b32_e32 v27, 1.0, v27, vcc_lo
	v_cvt_f32_u32_e32 v23, v24
	v_add_f32_e32 v25, 1.0, v23
	s_waitcnt vmcnt(0)
	v_cvt_f32_ubyte0_e32 v22, v22
	v_add_f32_e32 v26, 1.0, v20
	s_delay_alu instid0(VALU_DEP_1) | instskip(SKIP_2) | instid1(VALU_DEP_3)
	v_sub_f32_e32 v28, v11, v26
	v_cmp_gt_f32_e32 vcc_lo, v26, v11
	v_sub_f32_e32 v26, v12, v25
	v_add_f32_e32 v20, 1.0, v28
	s_delay_alu instid0(VALU_DEP_2) | instskip(SKIP_1) | instid1(VALU_DEP_3)
	v_add_f32_e32 v26, 1.0, v26
	v_sub_f32_e32 v24, v23, v10
	v_cndmask_b32_e32 v20, 1.0, v20, vcc_lo
	v_cmp_gt_f32_e32 vcc_lo, v10, v23
	s_delay_alu instid0(VALU_DEP_3) | instskip(NEXT) | instid1(VALU_DEP_3)
	v_add_f32_e32 v24, 1.0, v24
	v_mul_f32_e32 v20, v27, v20
	s_delay_alu instid0(VALU_DEP_1) | instskip(NEXT) | instid1(VALU_DEP_1)
	v_mul_f32_e32 v24, v24, v20
	v_cndmask_b32_e32 v20, v20, v24, vcc_lo
	v_cmp_gt_f32_e32 vcc_lo, v25, v12
	s_delay_alu instid0(VALU_DEP_2) | instskip(NEXT) | instid1(VALU_DEP_1)
	v_mul_f32_e32 v23, v26, v20
	v_cndmask_b32_e32 v20, v20, v23, vcc_lo
	v_cvt_f32_ubyte0_e32 v23, v21
	v_cvt_f32_ubyte1_e32 v21, v21
	v_cmp_ge_u32_e32 vcc_lo, v0, v18
	s_delay_alu instid0(VALU_DEP_3) | instskip(NEXT) | instid1(VALU_DEP_3)
	v_dual_add_f32 v2, v2, v20 :: v_dual_fmac_f32 v3, v20, v23
	v_fmac_f32_e32 v16, v20, v21
	v_fmac_f32_e32 v15, v20, v22
	s_or_b32 s6, vcc_lo, s6
	s_delay_alu instid0(SALU_CYCLE_1)
	s_and_not1_b32 exec_lo, exec_lo, s6
	s_cbranch_execnz .LBB0_4
; %bb.5:
	s_or_b32 exec_lo, exec_lo, s6
.LBB0_6:
	s_delay_alu instid0(SALU_CYCLE_1) | instskip(SKIP_2) | instid1(VALU_DEP_1)
	s_or_b32 exec_lo, exec_lo, s5
	v_mbcnt_lo_u32_b32 v0, -1, 0
	s_load_b64 s[2:3], s[0:1], 0x8
	v_cmp_gt_u32_e32 vcc_lo, 16, v0
	v_cndmask_b32_e64 v4, 0, 1, vcc_lo
	v_cmp_gt_u32_e32 vcc_lo, 24, v0
	s_delay_alu instid0(VALU_DEP_2) | instskip(SKIP_2) | instid1(VALU_DEP_3)
	v_lshlrev_b32_e32 v4, 4, v4
	v_cndmask_b32_e64 v9, 0, 1, vcc_lo
	v_cmp_gt_u32_e32 vcc_lo, 28, v0
	v_add_lshl_u32 v4, v4, v0, 2
	v_cndmask_b32_e64 v11, 0, 1, vcc_lo
	v_cmp_gt_u32_e32 vcc_lo, 30, v0
	ds_bpermute_b32 v5, v4, v3
	ds_bpermute_b32 v6, v4, v16
	;; [unrolled: 1-line block ×4, first 2 shown]
	v_lshlrev_b32_e32 v9, 3, v9
	s_waitcnt lgkmcnt(0)
	v_add_f32_e32 v3, v3, v5
	v_dual_add_f32 v5, v16, v6 :: v_dual_add_f32 v6, v15, v7
	v_add_f32_e32 v2, v2, v4
	v_add_lshl_u32 v9, v9, v0, 2
	ds_bpermute_b32 v4, v9, v3
	ds_bpermute_b32 v7, v9, v5
	;; [unrolled: 1-line block ×4, first 2 shown]
	v_lshlrev_b32_e32 v11, 2, v11
	s_waitcnt lgkmcnt(2)
	v_dual_add_f32 v3, v3, v4 :: v_dual_add_f32 v4, v5, v7
	s_waitcnt lgkmcnt(0)
	v_add_f32_e32 v2, v2, v9
	v_add_lshl_u32 v11, v11, v0, 2
	ds_bpermute_b32 v7, v11, v4
	v_add_f32_e32 v5, v6, v10
	ds_bpermute_b32 v6, v11, v3
	ds_bpermute_b32 v10, v11, v2
	s_waitcnt lgkmcnt(2)
	v_add_f32_e32 v4, v4, v7
	ds_bpermute_b32 v9, v11, v5
	v_cndmask_b32_e64 v11, 0, 1, vcc_lo
	s_waitcnt lgkmcnt(2)
	v_add_f32_e32 v3, v3, v6
	s_waitcnt lgkmcnt(1)
	v_add_f32_e32 v6, v2, v10
	v_cmp_ne_u32_e32 vcc_lo, 31, v0
	v_lshlrev_b32_e32 v11, 1, v11
	s_delay_alu instid0(VALU_DEP_1)
	v_add_lshl_u32 v11, v11, v0, 2
	v_add_co_ci_u32_e32 v0, vcc_lo, 0, v0, vcc_lo
	v_cmp_eq_u32_e32 vcc_lo, 0, v8
	ds_bpermute_b32 v2, v11, v3
	ds_bpermute_b32 v7, v11, v4
	ds_bpermute_b32 v10, v11, v6
	s_waitcnt lgkmcnt(3)
	v_add_f32_e32 v5, v5, v9
	ds_bpermute_b32 v9, v11, v5
	s_waitcnt lgkmcnt(3)
	v_dual_add_f32 v0, v3, v2 :: v_dual_lshlrev_b32 v11, 2, v0
	s_waitcnt lgkmcnt(1)
	v_dual_add_f32 v2, v4, v7 :: v_dual_add_f32 v7, v6, v10
	ds_bpermute_b32 v4, v11, v0
	s_waitcnt lgkmcnt(1)
	v_add_f32_e32 v3, v5, v9
	ds_bpermute_b32 v5, v11, v2
	ds_bpermute_b32 v9, v11, v7
	;; [unrolled: 1-line block ×3, first 2 shown]
	s_and_b32 exec_lo, exec_lo, vcc_lo
	s_cbranch_execz .LBB0_8
; %bb.7:
	s_waitcnt lgkmcnt(1)
	v_dual_add_f32 v7, v7, v9 :: v_dual_add_f32 v0, v0, v4
	s_waitcnt lgkmcnt(0)
	v_dual_add_f32 v4, v2, v5 :: v_dual_add_f32 v5, v3, v6
	s_delay_alu instid0(VALU_DEP_2) | instskip(NEXT) | instid1(VALU_DEP_2)
	v_div_scale_f32 v6, null, v7, v7, v0
	v_div_scale_f32 v8, null, v7, v7, v4
	s_delay_alu instid0(VALU_DEP_3) | instskip(NEXT) | instid1(VALU_DEP_3)
	v_div_scale_f32 v9, null, v7, v7, v5
	v_rcp_f32_e32 v10, v6
	s_delay_alu instid0(VALU_DEP_2) | instskip(SKIP_1) | instid1(VALU_DEP_2)
	v_rcp_f32_e32 v11, v8
	v_div_scale_f32 v13, vcc_lo, v0, v7, v0
	v_rcp_f32_e32 v12, v9
	v_div_scale_f32 v14, s0, v4, v7, v4
	v_div_scale_f32 v16, s1, v5, v7, v5
	s_delay_alu instid0(TRANS32_DEP_3) | instskip(SKIP_3) | instid1(VALU_DEP_2)
	v_fma_f32 v2, -v6, v10, 1.0
	s_waitcnt_depctr 0xfff
	v_fma_f32 v3, -v8, v11, 1.0
	v_fma_f32 v15, -v9, v12, 1.0
	v_dual_fmac_f32 v10, v2, v10 :: v_dual_fmac_f32 v11, v3, v11
	s_delay_alu instid0(VALU_DEP_1) | instskip(NEXT) | instid1(VALU_DEP_1)
	v_dual_fmac_f32 v12, v15, v12 :: v_dual_mul_f32 v15, v13, v10
	v_dual_mul_f32 v17, v14, v11 :: v_dual_mul_f32 v18, v16, v12
	s_delay_alu instid0(VALU_DEP_2) | instskip(NEXT) | instid1(VALU_DEP_2)
	v_fma_f32 v2, -v6, v15, v13
	v_fma_f32 v3, -v8, v17, v14
	s_delay_alu instid0(VALU_DEP_3) | instskip(NEXT) | instid1(VALU_DEP_3)
	v_fma_f32 v19, -v9, v18, v16
	v_fmac_f32_e32 v15, v2, v10
	s_delay_alu instid0(VALU_DEP_3) | instskip(SKIP_1) | instid1(VALU_DEP_4)
	v_fmac_f32_e32 v17, v3, v11
	v_mad_u64_u32 v[2:3], null, s8, s15, v[1:2]
	v_fmac_f32_e32 v18, v19, v12
	s_delay_alu instid0(VALU_DEP_4) | instskip(NEXT) | instid1(VALU_DEP_4)
	v_fma_f32 v1, -v6, v15, v13
	v_fma_f32 v3, -v8, v17, v14
	s_delay_alu instid0(VALU_DEP_3) | instskip(NEXT) | instid1(VALU_DEP_3)
	v_fma_f32 v6, -v9, v18, v16
	v_div_fmas_f32 v1, v1, v10, v15
	s_mov_b32 vcc_lo, s0
	s_delay_alu instid0(VALU_DEP_3) | instskip(SKIP_1) | instid1(VALU_DEP_2)
	v_div_fmas_f32 v3, v3, v11, v17
	s_mov_b32 vcc_lo, s1
	v_div_fixup_f32 v0, v1, v7, v0
	v_div_fmas_f32 v6, v6, v12, v18
	s_delay_alu instid0(VALU_DEP_3) | instskip(NEXT) | instid1(VALU_DEP_3)
	v_div_fixup_f32 v1, v3, v7, v4
	v_cvt_i32_f32_e32 v4, v0
	s_delay_alu instid0(VALU_DEP_3) | instskip(NEXT) | instid1(VALU_DEP_3)
	v_div_fixup_f32 v3, v6, v7, v5
	v_cvt_i32_f32_e32 v5, v1
	v_mad_u64_u32 v[0:1], null, v2, 3, s[2:3]
	s_delay_alu instid0(VALU_DEP_3) | instskip(NEXT) | instid1(VALU_DEP_3)
	v_cvt_i32_f32_e32 v2, v3
	v_lshl_or_b32 v3, v5, 8, v4
	s_clause 0x1
	global_store_b8 v[0:1], v2, off offset:2
	global_store_b16 v[0:1], v3, off
.LBB0_8:
	s_nop 0
	s_sendmsg sendmsg(MSG_DEALLOC_VGPRS)
	s_endpgm
	.section	.rodata,"a",@progbits
	.p2align	6, 0x0
	.amdhsa_kernel _Z14kernelGuidancePK15HIP_vector_typeIhLj3EEPS0_6Params
		.amdhsa_group_segment_fixed_size 0
		.amdhsa_private_segment_fixed_size 0
		.amdhsa_kernarg_size 48
		.amdhsa_user_sgpr_count 14
		.amdhsa_user_sgpr_dispatch_ptr 0
		.amdhsa_user_sgpr_queue_ptr 0
		.amdhsa_user_sgpr_kernarg_segment_ptr 1
		.amdhsa_user_sgpr_dispatch_id 0
		.amdhsa_user_sgpr_private_segment_size 0
		.amdhsa_wavefront_size32 1
		.amdhsa_uses_dynamic_stack 0
		.amdhsa_enable_private_segment 0
		.amdhsa_system_sgpr_workgroup_id_x 1
		.amdhsa_system_sgpr_workgroup_id_y 1
		.amdhsa_system_sgpr_workgroup_id_z 0
		.amdhsa_system_sgpr_workgroup_info 0
		.amdhsa_system_vgpr_workitem_id 0
		.amdhsa_next_free_vgpr 29
		.amdhsa_next_free_sgpr 16
		.amdhsa_reserve_vcc 1
		.amdhsa_float_round_mode_32 0
		.amdhsa_float_round_mode_16_64 0
		.amdhsa_float_denorm_mode_32 3
		.amdhsa_float_denorm_mode_16_64 3
		.amdhsa_dx10_clamp 1
		.amdhsa_ieee_mode 1
		.amdhsa_fp16_overflow 0
		.amdhsa_workgroup_processor_mode 1
		.amdhsa_memory_ordered 1
		.amdhsa_forward_progress 0
		.amdhsa_shared_vgpr_count 0
		.amdhsa_exception_fp_ieee_invalid_op 0
		.amdhsa_exception_fp_denorm_src 0
		.amdhsa_exception_fp_ieee_div_zero 0
		.amdhsa_exception_fp_ieee_overflow 0
		.amdhsa_exception_fp_ieee_underflow 0
		.amdhsa_exception_fp_ieee_inexact 0
		.amdhsa_exception_int_div_zero 0
	.end_amdhsa_kernel
	.text
.Lfunc_end0:
	.size	_Z14kernelGuidancePK15HIP_vector_typeIhLj3EEPS0_6Params, .Lfunc_end0-_Z14kernelGuidancePK15HIP_vector_typeIhLj3EEPS0_6Params
                                        ; -- End function
	.section	.AMDGPU.csdata,"",@progbits
; Kernel info:
; codeLenInByte = 1492
; NumSgprs: 18
; NumVgprs: 29
; ScratchSize: 0
; MemoryBound: 0
; FloatMode: 240
; IeeeMode: 1
; LDSByteSize: 0 bytes/workgroup (compile time only)
; SGPRBlocks: 2
; VGPRBlocks: 3
; NumSGPRsForWavesPerEU: 18
; NumVGPRsForWavesPerEU: 29
; Occupancy: 16
; WaveLimiterHint : 0
; COMPUTE_PGM_RSRC2:SCRATCH_EN: 0
; COMPUTE_PGM_RSRC2:USER_SGPR: 14
; COMPUTE_PGM_RSRC2:TRAP_HANDLER: 0
; COMPUTE_PGM_RSRC2:TGID_X_EN: 1
; COMPUTE_PGM_RSRC2:TGID_Y_EN: 1
; COMPUTE_PGM_RSRC2:TGID_Z_EN: 0
; COMPUTE_PGM_RSRC2:TIDIG_COMP_CNT: 0
	.text
	.protected	_Z18kernelDownsamplingPK15HIP_vector_typeIhLj3EES2_6ParamsPS0_ ; -- Begin function _Z18kernelDownsamplingPK15HIP_vector_typeIhLj3EES2_6ParamsPS0_
	.globl	_Z18kernelDownsamplingPK15HIP_vector_typeIhLj3EES2_6ParamsPS0_
	.p2align	8
	.type	_Z18kernelDownsamplingPK15HIP_vector_typeIhLj3EES2_6ParamsPS0_,@function
_Z18kernelDownsamplingPK15HIP_vector_typeIhLj3EES2_6ParamsPS0_: ; @_Z18kernelDownsamplingPK15HIP_vector_typeIhLj3EES2_6ParamsPS0_
; %bb.0:
	s_load_b128 s[4:7], s[0:1], 0x10
	v_lshrrev_b32_e32 v2, 5, v0
	s_lshl_b32 s14, s14, 2
	s_mov_b32 s2, exec_lo
	s_delay_alu instid0(VALU_DEP_1) | instskip(SKIP_1) | instid1(VALU_DEP_1)
	v_add_nc_u32_e32 v1, s14, v2
	s_waitcnt lgkmcnt(0)
	v_cmpx_gt_u32_e64 s4, v1
	s_cbranch_execz .LBB1_35
; %bb.1:
	s_load_b128 s[8:11], s[0:1], 0x20
	s_cmp_ge_u32 s15, s5
	s_cbranch_scc1 .LBB1_35
; %bb.2:
	s_load_b64 s[2:3], s[0:1], 0x8
	v_sub_nc_u32_e32 v7, 0, v2
	v_dual_mov_b32 v6, 0 :: v_dual_add_nc_u32 v5, 1, v1
	v_dual_mov_b32 v4, 0 :: v_dual_mov_b32 v3, 0
	s_delay_alu instid0(VALU_DEP_3)
	v_cmp_ne_u32_e32 vcc_lo, s14, v7
	v_mov_b32_e32 v2, 0
	s_cmp_eq_u32 s15, 0
	s_cbranch_scc1 .LBB1_10
; %bb.3:
                                        ; implicit-def: $sgpr13
                                        ; implicit-def: $vgpr4
                                        ; implicit-def: $vgpr3
                                        ; implicit-def: $vgpr2
                                        ; implicit-def: $sgpr12
	s_waitcnt lgkmcnt(0)
	s_and_saveexec_b32 s11, vcc_lo
	s_delay_alu instid0(SALU_CYCLE_1)
	s_xor_b32 s11, exec_lo, s11
	s_cbranch_execz .LBB1_5
; %bb.4:
	s_add_i32 s12, s15, -1
	s_mov_b32 s13, 1.0
	s_mul_i32 s12, s4, s12
	s_delay_alu instid0(SALU_CYCLE_1) | instskip(NEXT) | instid1(VALU_DEP_1)
	v_add3_u32 v4, v1, s12, -1
	v_mad_u64_u32 v[2:3], null, v4, 3, s[2:3]
	s_clause 0x1
	global_load_u16 v4, v[2:3], off
	global_load_u8 v6, v[2:3], off offset:2
	s_waitcnt vmcnt(1)
	v_cvt_f32_ubyte0_e32 v2, v4
	v_cvt_f32_ubyte1_e32 v3, v4
	s_waitcnt vmcnt(0)
	v_cvt_f32_ubyte0_e32 v4, v6
.LBB1_5:
	s_or_saveexec_b32 s11, s11
	v_mov_b32_e32 v8, s12
	v_mov_b32_e32 v6, s13
	s_xor_b32 exec_lo, exec_lo, s11
; %bb.6:
	s_add_i32 s12, s15, -1
	v_dual_mov_b32 v2, 0 :: v_dual_mov_b32 v3, 0
	s_mul_i32 s12, s4, s12
	v_mov_b32_e32 v4, 0
	v_mov_b32_e32 v8, s12
	;; [unrolled: 1-line block ×3, first 2 shown]
; %bb.7:
	s_or_b32 exec_lo, exec_lo, s11
	s_delay_alu instid0(VALU_DEP_1) | instskip(SKIP_1) | instid1(VALU_DEP_1)
	v_dual_add_f32 v6, 2.0, v6 :: v_dual_add_nc_u32 v11, v8, v1
	s_mov_b32 s11, exec_lo
	v_mad_u64_u32 v[9:10], null, v11, 3, s[2:3]
	s_clause 0x1
	global_load_u16 v11, v[9:10], off
	global_load_u8 v9, v[9:10], off offset:2
	s_waitcnt vmcnt(1)
	v_cvt_f32_ubyte0_e32 v10, v11
	v_cvt_f32_ubyte1_e32 v11, v11
	s_waitcnt vmcnt(0)
	v_cvt_f32_ubyte0_e32 v9, v9
	s_delay_alu instid0(VALU_DEP_2) | instskip(NEXT) | instid1(VALU_DEP_2)
	v_dual_fmac_f32 v2, 2.0, v10 :: v_dual_fmac_f32 v3, 2.0, v11
	v_fmac_f32_e32 v4, 2.0, v9
	v_cmpx_gt_u32_e64 s4, v5
	s_cbranch_execz .LBB1_9
; %bb.8:
	v_add_nc_u32_e32 v10, v8, v5
	v_add_f32_e32 v6, 1.0, v6
	s_delay_alu instid0(VALU_DEP_2)
	v_mad_u64_u32 v[8:9], null, v10, 3, s[2:3]
	s_clause 0x1
	global_load_u16 v10, v[8:9], off
	global_load_u8 v8, v[8:9], off offset:2
	s_waitcnt vmcnt(1)
	v_cvt_f32_ubyte0_e32 v9, v10
	v_cvt_f32_ubyte1_e32 v10, v10
	s_waitcnt vmcnt(0)
	v_cvt_f32_ubyte0_e32 v8, v8
	s_delay_alu instid0(VALU_DEP_2) | instskip(NEXT) | instid1(VALU_DEP_2)
	v_dual_add_f32 v2, v2, v9 :: v_dual_add_f32 v3, v3, v10
	v_add_f32_e32 v4, v4, v8
.LBB1_9:
	s_or_b32 exec_lo, exec_lo, s11
.LBB1_10:
	s_clause 0x1
	s_load_b64 s[16:17], s[0:1], 0x0
	s_load_b64 s[12:13], s[0:1], 0x30
	v_cmp_ne_u32_e32 vcc_lo, s14, v7
	s_mul_i32 s0, s4, s15
	s_and_saveexec_b32 s1, vcc_lo
	s_delay_alu instid0(SALU_CYCLE_1)
	s_xor_b32 s1, exec_lo, s1
	s_cbranch_execz .LBB1_12
; %bb.11:
	v_add3_u32 v9, v1, s0, -1
	v_add_f32_e32 v6, 2.0, v6
	s_waitcnt lgkmcnt(0)
	s_delay_alu instid0(VALU_DEP_2)
	v_mad_u64_u32 v[7:8], null, v9, 3, s[2:3]
	s_clause 0x1
	global_load_u16 v9, v[7:8], off
	global_load_u8 v7, v[7:8], off offset:2
	s_waitcnt vmcnt(1)
	v_cvt_f32_ubyte0_e32 v8, v9
	v_cvt_f32_ubyte1_e32 v9, v9
	s_waitcnt vmcnt(0)
	v_cvt_f32_ubyte0_e32 v7, v7
	s_delay_alu instid0(VALU_DEP_2) | instskip(NEXT) | instid1(VALU_DEP_2)
	v_dual_fmac_f32 v2, 2.0, v8 :: v_dual_fmac_f32 v3, 2.0, v9
	v_fmac_f32_e32 v4, 2.0, v7
.LBB1_12:
	s_or_saveexec_b32 s1, s1
	v_mov_b32_e32 v7, s0
	s_xor_b32 exec_lo, exec_lo, s1
; %bb.13:
	v_mov_b32_e32 v7, s0
; %bb.14:
	s_or_b32 exec_lo, exec_lo, s1
	s_delay_alu instid0(VALU_DEP_1) | instskip(SKIP_3) | instid1(VALU_DEP_3)
	v_add_nc_u32_e32 v10, v7, v1
	v_add_f32_e32 v6, 4.0, v6
	v_cmp_gt_u32_e64 s0, s4, v5
	s_waitcnt lgkmcnt(0)
	v_mad_u64_u32 v[8:9], null, v10, 3, s[2:3]
	s_clause 0x1
	global_load_u16 v10, v[8:9], off
	global_load_u8 v8, v[8:9], off offset:2
	s_waitcnt vmcnt(1)
	v_cvt_f32_ubyte0_e32 v9, v10
	v_cvt_f32_ubyte1_e32 v10, v10
	s_waitcnt vmcnt(0)
	v_cvt_f32_ubyte0_e32 v8, v8
	s_delay_alu instid0(VALU_DEP_2) | instskip(NEXT) | instid1(VALU_DEP_2)
	v_dual_fmac_f32 v2, 4.0, v9 :: v_dual_fmac_f32 v3, 4.0, v10
	v_fmac_f32_e32 v4, 4.0, v8
	s_and_saveexec_b32 s1, s0
	s_cbranch_execz .LBB1_16
; %bb.15:
	v_dual_add_f32 v6, 2.0, v6 :: v_dual_add_nc_u32 v9, v7, v5
	s_delay_alu instid0(VALU_DEP_1)
	v_mad_u64_u32 v[7:8], null, v9, 3, s[2:3]
	s_clause 0x1
	global_load_u16 v9, v[7:8], off
	global_load_u8 v7, v[7:8], off offset:2
	s_waitcnt vmcnt(1)
	v_cvt_f32_ubyte0_e32 v8, v9
	v_cvt_f32_ubyte1_e32 v9, v9
	s_waitcnt vmcnt(0)
	v_cvt_f32_ubyte0_e32 v7, v7
	s_delay_alu instid0(VALU_DEP_2) | instskip(NEXT) | instid1(VALU_DEP_2)
	v_dual_fmac_f32 v2, 2.0, v8 :: v_dual_fmac_f32 v3, 2.0, v9
	v_fmac_f32_e32 v4, 2.0, v7
.LBB1_16:
	s_or_b32 exec_lo, exec_lo, s1
	s_add_i32 s1, s15, 1
	s_delay_alu instid0(SALU_CYCLE_1)
	s_cmp_ge_u32 s1, s5
	s_cbranch_scc1 .LBB1_24
; %bb.17:
	s_mul_i32 s5, s4, s1
	s_and_saveexec_b32 s11, vcc_lo
	s_delay_alu instid0(SALU_CYCLE_1)
	s_xor_b32 s11, exec_lo, s11
	s_cbranch_execz .LBB1_19
; %bb.18:
	v_add3_u32 v9, v1, s5, -1
	v_add_f32_e32 v6, 1.0, v6
	s_delay_alu instid0(VALU_DEP_2)
	v_mad_u64_u32 v[7:8], null, v9, 3, s[2:3]
	s_clause 0x1
	global_load_u16 v9, v[7:8], off
	global_load_u8 v7, v[7:8], off offset:2
	s_waitcnt vmcnt(1)
	v_cvt_f32_ubyte0_e32 v8, v9
	v_cvt_f32_ubyte1_e32 v9, v9
	s_waitcnt vmcnt(0)
	v_cvt_f32_ubyte0_e32 v7, v7
	s_delay_alu instid0(VALU_DEP_2) | instskip(NEXT) | instid1(VALU_DEP_2)
	v_dual_add_f32 v2, v2, v8 :: v_dual_add_f32 v3, v3, v9
	v_add_f32_e32 v4, v4, v7
.LBB1_19:
	s_or_saveexec_b32 s11, s11
	v_mov_b32_e32 v7, s5
	s_xor_b32 exec_lo, exec_lo, s11
; %bb.20:
	v_mov_b32_e32 v7, s5
; %bb.21:
	s_or_b32 exec_lo, exec_lo, s11
	s_delay_alu instid0(VALU_DEP_1) | instskip(SKIP_1) | instid1(VALU_DEP_2)
	v_add_nc_u32_e32 v10, v7, v1
	v_add_f32_e32 v6, 2.0, v6
	v_mad_u64_u32 v[8:9], null, v10, 3, s[2:3]
	s_clause 0x1
	global_load_u16 v10, v[8:9], off
	global_load_u8 v8, v[8:9], off offset:2
	s_waitcnt vmcnt(1)
	v_cvt_f32_ubyte0_e32 v9, v10
	v_cvt_f32_ubyte1_e32 v10, v10
	s_waitcnt vmcnt(0)
	v_cvt_f32_ubyte0_e32 v8, v8
	s_delay_alu instid0(VALU_DEP_2) | instskip(NEXT) | instid1(VALU_DEP_2)
	v_dual_fmac_f32 v2, 2.0, v9 :: v_dual_fmac_f32 v3, 2.0, v10
	v_fmac_f32_e32 v4, 2.0, v8
	s_and_saveexec_b32 s5, s0
	s_cbranch_execz .LBB1_23
; %bb.22:
	v_dual_add_f32 v6, 1.0, v6 :: v_dual_add_nc_u32 v9, v7, v5
	s_delay_alu instid0(VALU_DEP_1)
	v_mad_u64_u32 v[7:8], null, v9, 3, s[2:3]
	s_clause 0x1
	global_load_u16 v9, v[7:8], off
	global_load_u8 v7, v[7:8], off offset:2
	s_waitcnt vmcnt(1)
	v_cvt_f32_ubyte0_e32 v8, v9
	v_cvt_f32_ubyte1_e32 v9, v9
	s_waitcnt vmcnt(0)
	v_cvt_f32_ubyte0_e32 v7, v7
	s_delay_alu instid0(VALU_DEP_2) | instskip(NEXT) | instid1(VALU_DEP_2)
	v_dual_add_f32 v2, v2, v8 :: v_dual_add_f32 v3, v3, v9
	v_add_f32_e32 v4, v4, v7
.LBB1_23:
	s_or_b32 exec_lo, exec_lo, s5
.LBB1_24:
	v_cvt_f32_u32_e32 v7, v1
	v_cvt_f32_u32_e32 v8, s15
	;; [unrolled: 1-line block ×5, first 2 shown]
	s_delay_alu instid0(VALU_DEP_4) | instskip(NEXT) | instid1(VALU_DEP_4)
	v_dual_mul_f32 v7, s8, v7 :: v_dual_mul_f32 v8, s9, v8
	v_mul_f32_e32 v5, s8, v5
	v_div_scale_f32 v21, null, v6, v6, v4
	s_delay_alu instid0(VALU_DEP_3) | instskip(SKIP_4) | instid1(VALU_DEP_3)
	v_dual_max_f32 v11, 0, v7 :: v_dual_max_f32 v12, 0, v8
	v_mul_f32_e32 v8, s9, v10
	v_cvt_f32_u32_e32 v10, s7
	v_div_scale_f32 v7, null, v6, v6, v2
	v_div_scale_f32 v13, null, v6, v6, v3
	v_dual_min_f32 v14, v5, v9 :: v_dual_min_f32 v15, v8, v10
	v_rcp_f32_e32 v8, v21
	s_delay_alu instid0(VALU_DEP_3) | instskip(NEXT) | instid1(VALU_DEP_2)
	v_rcp_f32_e32 v20, v7
	v_rcp_f32_e32 v22, v13
	v_floor_f32_e32 v5, v12
	v_floor_f32_e32 v16, v11
	v_ceil_f32_e32 v10, v15
	v_div_scale_f32 v25, s1, v4, v6, v4
	s_delay_alu instid0(VALU_DEP_4) | instskip(SKIP_1) | instid1(TRANS32_DEP_3)
	v_cvt_u32_f32_e32 v17, v5
	v_ceil_f32_e32 v5, v14
	v_fma_f32 v19, -v21, v8, 1.0
	s_delay_alu instid0(TRANS32_DEP_2) | instskip(NEXT) | instid1(TRANS32_DEP_1)
	v_fma_f32 v9, -v7, v20, 1.0
	v_fma_f32 v18, -v13, v22, 1.0
	v_cvt_u32_f32_e32 v16, v16
	v_div_scale_f32 v23, s0, v3, v6, v3
	v_fmac_f32_e32 v8, v19, v8
	v_fmac_f32_e32 v20, v9, v20
	v_div_scale_f32 v9, vcc_lo, v2, v6, v2
	s_delay_alu instid0(VALU_DEP_3) | instskip(SKIP_2) | instid1(VALU_DEP_4)
	v_dual_fmac_f32 v22, v18, v22 :: v_dual_mul_f32 v27, v25, v8
	v_cvt_u32_f32_e32 v5, v5
	v_cvt_u32_f32_e32 v10, v10
	v_mul_f32_e32 v24, v9, v20
	s_mov_b32 s7, 0
	s_mov_b32 s5, exec_lo
	v_sub_nc_u32_e32 v18, v5, v16
	v_sub_nc_u32_e32 v5, v10, v17
	v_fma_f32 v10, -v21, v27, v25
	v_mul_f32_e32 v26, v23, v22
	v_fma_f32 v19, -v7, v24, v9
	s_delay_alu instid0(VALU_DEP_3) | instskip(NEXT) | instid1(VALU_DEP_3)
	v_fmac_f32_e32 v27, v10, v8
	v_fma_f32 v28, -v13, v26, v23
	s_delay_alu instid0(VALU_DEP_3) | instskip(SKIP_1) | instid1(VALU_DEP_3)
	v_fmac_f32_e32 v24, v19, v20
	v_mul_lo_u32 v19, v5, v18
	v_fmac_f32_e32 v26, v28, v22
	s_delay_alu instid0(VALU_DEP_3) | instskip(SKIP_2) | instid1(VALU_DEP_4)
	v_fma_f32 v5, -v7, v24, v9
	v_fma_f32 v9, -v21, v27, v25
	v_mov_b32_e32 v21, 0
	v_fma_f32 v7, -v13, v26, v23
	v_and_b32_e32 v13, 31, v0
	v_div_fmas_f32 v5, v5, v20, v24
	s_mov_b32 vcc_lo, s0
	v_mov_b32_e32 v20, 0
	v_div_fmas_f32 v7, v7, v22, v26
	s_mov_b32 vcc_lo, s1
	v_mov_b32_e32 v22, 0
	v_div_fmas_f32 v10, v9, v8, v27
	v_div_fixup_f32 v8, v5, v6, v2
	v_div_fixup_f32 v9, v7, v6, v3
	v_mov_b32_e32 v3, 0
	s_delay_alu instid0(VALU_DEP_4)
	v_div_fixup_f32 v10, v10, v6, v4
	v_cmpx_lt_u32_e64 v13, v19
	s_cbranch_execz .LBB1_31
; %bb.25:
	v_cvt_f32_u32_e32 v2, v18
	v_sub_nc_u32_e32 v23, 0, v18
	v_cmp_neq_f32_e64 s0, s10, 0
	v_cmp_neq_f32_e64 s1, s10, 1.0
	v_cmp_eq_f32_e64 s8, s10, 0
	v_rcp_iflag_f32_e32 v2, v2
	s_mov_b32 s11, 0x3e76c4e1
	s_delay_alu instid0(VALU_DEP_2) | instskip(SKIP_2) | instid1(VALU_DEP_1)
	s_and_b32 s9, s0, s1
	s_waitcnt_depctr 0xfff
	v_mul_f32_e32 v2, 0x4f7ffffe, v2
	v_cvt_u32_f32_e32 v2, v2
	s_delay_alu instid0(VALU_DEP_1) | instskip(NEXT) | instid1(VALU_DEP_1)
	v_mul_lo_u32 v3, v23, v2
	v_mul_hi_u32 v3, v2, v3
	s_delay_alu instid0(VALU_DEP_1) | instskip(NEXT) | instid1(VALU_DEP_1)
	v_dual_mov_b32 v3, 0 :: v_dual_add_nc_u32 v2, v2, v3
	v_dual_mov_b32 v21, v3 :: v_dual_and_b32 v0, 31, v0
	s_delay_alu instid0(VALU_DEP_1)
	v_mad_u64_u32 v[4:5], null, v2, v0, 0
	v_lshlrev_b64 v[6:7], 5, v[2:3]
	v_mov_b32_e32 v0, v13
	v_mov_b32_e32 v22, v3
	;; [unrolled: 1-line block ×3, first 2 shown]
	s_branch .LBB1_28
.LBB1_26:                               ;   in Loop: Header=BB1_28 Depth=1
	s_delay_alu instid0(VALU_DEP_1) | instskip(SKIP_1) | instid1(VALU_DEP_2)
	v_frexp_mant_f32_e64 v29, |v28|
	v_cmp_lt_f32_e64 s14, |v28|, 1.0
	v_cmp_gt_f32_e32 vcc_lo, 0x3f2aaaab, v29
	v_cndmask_b32_e64 v30, 1.0, 2.0, vcc_lo
	s_delay_alu instid0(VALU_DEP_1) | instskip(NEXT) | instid1(VALU_DEP_1)
	v_mul_f32_e32 v29, v29, v30
	v_add_f32_e32 v32, -1.0, v29
	v_add_f32_e32 v30, 1.0, v29
	s_delay_alu instid0(VALU_DEP_1) | instskip(SKIP_2) | instid1(VALU_DEP_1)
	v_rcp_f32_e32 v31, v30
	s_waitcnt_depctr 0xfff
	v_dual_mul_f32 v33, v32, v31 :: v_dual_add_f32 v34, -1.0, v30
	v_mul_f32_e32 v35, v30, v33
	s_delay_alu instid0(VALU_DEP_2) | instskip(NEXT) | instid1(VALU_DEP_2)
	v_sub_f32_e32 v29, v29, v34
	v_fma_f32 v30, v33, v30, -v35
	s_delay_alu instid0(VALU_DEP_1) | instskip(NEXT) | instid1(VALU_DEP_1)
	v_fmac_f32_e32 v30, v33, v29
	v_add_f32_e32 v29, v35, v30
	s_delay_alu instid0(VALU_DEP_1) | instskip(NEXT) | instid1(VALU_DEP_1)
	v_dual_sub_f32 v34, v32, v29 :: v_dual_sub_f32 v35, v29, v35
	v_sub_f32_e32 v30, v35, v30
	s_delay_alu instid0(VALU_DEP_2) | instskip(NEXT) | instid1(VALU_DEP_1)
	v_sub_f32_e32 v32, v32, v34
	v_sub_f32_e32 v29, v32, v29
	s_delay_alu instid0(VALU_DEP_1) | instskip(NEXT) | instid1(VALU_DEP_1)
	v_add_f32_e32 v29, v30, v29
	v_add_f32_e32 v29, v34, v29
	s_delay_alu instid0(VALU_DEP_1) | instskip(NEXT) | instid1(VALU_DEP_1)
	v_mul_f32_e32 v29, v31, v29
	v_add_f32_e32 v31, v33, v29
	s_delay_alu instid0(VALU_DEP_1) | instskip(SKIP_1) | instid1(VALU_DEP_1)
	v_sub_f32_e32 v30, v31, v33
	v_mul_f32_e32 v32, v31, v31
	v_fma_f32 v34, v31, v31, -v32
	s_delay_alu instid0(VALU_DEP_3) | instskip(NEXT) | instid1(VALU_DEP_1)
	v_sub_f32_e32 v33, v29, v30
	v_add_f32_e32 v29, v33, v33
	s_delay_alu instid0(VALU_DEP_1) | instskip(SKIP_1) | instid1(VALU_DEP_2)
	v_fmac_f32_e32 v34, v31, v29
	v_cvt_f64_f32_e64 v[29:30], |v28|
	v_add_f32_e32 v35, v32, v34
	s_delay_alu instid0(VALU_DEP_1) | instskip(SKIP_1) | instid1(VALU_DEP_2)
	v_sub_f32_e32 v32, v35, v32
	v_fmaak_f32 v36, s11, v35, 0x3e91f4c4
	v_sub_f32_e32 v32, v34, v32
	s_delay_alu instid0(VALU_DEP_2) | instskip(SKIP_1) | instid1(VALU_DEP_2)
	v_fmaak_f32 v36, v35, v36, 0x3ecccdef
	v_mul_f32_e32 v39, v31, v35
	v_mul_f32_e32 v37, v35, v36
	s_delay_alu instid0(VALU_DEP_1) | instskip(NEXT) | instid1(VALU_DEP_1)
	v_fma_f32 v34, v35, v36, -v37
	v_fmac_f32_e32 v34, v32, v36
	s_delay_alu instid0(VALU_DEP_1) | instskip(SKIP_1) | instid1(VALU_DEP_2)
	v_add_f32_e32 v36, v37, v34
	v_frexp_exp_i32_f64_e32 v29, v[29:30]
	v_sub_f32_e32 v37, v36, v37
	s_delay_alu instid0(VALU_DEP_1) | instskip(SKIP_1) | instid1(VALU_DEP_1)
	v_sub_f32_e32 v30, v34, v37
	v_fma_f32 v37, v35, v31, -v39
	v_dual_fmac_f32 v37, v35, v33 :: v_dual_add_f32 v38, 0x3f2aaaaa, v36
	v_ldexp_f32 v33, v33, 1
	s_delay_alu instid0(VALU_DEP_2) | instskip(SKIP_1) | instid1(VALU_DEP_2)
	v_dual_fmac_f32 v37, v32, v31 :: v_dual_add_f32 v34, 0xbf2aaaaa, v38
	v_add_f32_e32 v30, 0x31739010, v30
	v_sub_f32_e32 v34, v36, v34
	s_delay_alu instid0(VALU_DEP_1) | instskip(NEXT) | instid1(VALU_DEP_4)
	v_add_f32_e32 v30, v30, v34
	v_add_f32_e32 v34, v39, v37
	v_subrev_co_ci_u32_e32 v29, vcc_lo, 0, v29, vcc_lo
	v_cmp_eq_f32_e32 vcc_lo, 1.0, v28
	s_delay_alu instid0(VALU_DEP_2) | instskip(SKIP_1) | instid1(VALU_DEP_1)
	v_cvt_f32_i32_e32 v29, v29
	v_add_f32_e32 v32, v38, v30
	v_sub_f32_e32 v35, v38, v32
	v_sub_f32_e32 v38, v34, v39
	s_delay_alu instid0(VALU_DEP_1) | instskip(SKIP_1) | instid1(VALU_DEP_1)
	v_dual_add_f32 v30, v30, v35 :: v_dual_sub_f32 v37, v37, v38
	v_mul_f32_e32 v36, v34, v32
	v_fma_f32 v35, v34, v32, -v36
	s_delay_alu instid0(VALU_DEP_1) | instskip(SKIP_1) | instid1(VALU_DEP_2)
	v_fmac_f32_e32 v35, v34, v30
	v_ldexp_f32 v30, v31, 1
	v_fmac_f32_e32 v35, v37, v32
	s_delay_alu instid0(VALU_DEP_1) | instskip(NEXT) | instid1(VALU_DEP_1)
	v_add_f32_e32 v31, v36, v35
	v_sub_f32_e32 v34, v31, v36
	v_mul_f32_e32 v36, 0x3f317218, v29
	v_add_f32_e32 v32, v30, v31
	s_delay_alu instid0(VALU_DEP_3) | instskip(NEXT) | instid1(VALU_DEP_3)
	v_sub_f32_e32 v34, v35, v34
	v_fma_f32 v35, 0x3f317218, v29, -v36
	s_delay_alu instid0(VALU_DEP_1) | instskip(NEXT) | instid1(VALU_DEP_1)
	v_dual_fmac_f32 v35, 0xb102e308, v29 :: v_dual_sub_f32 v30, v32, v30
	v_sub_f32_e32 v30, v31, v30
	s_delay_alu instid0(VALU_DEP_4) | instskip(NEXT) | instid1(VALU_DEP_1)
	v_add_f32_e32 v31, v33, v34
	v_add_f32_e32 v29, v31, v30
	s_delay_alu instid0(VALU_DEP_1) | instskip(SKIP_1) | instid1(VALU_DEP_1)
	v_add_f32_e32 v31, v32, v29
	v_add_f32_e32 v30, v36, v35
	;; [unrolled: 1-line block ×3, first 2 shown]
	s_delay_alu instid0(VALU_DEP_1) | instskip(NEXT) | instid1(VALU_DEP_1)
	v_sub_f32_e32 v34, v33, v30
	v_dual_sub_f32 v37, v33, v34 :: v_dual_sub_f32 v32, v31, v32
	v_sub_f32_e32 v31, v31, v34
	s_delay_alu instid0(VALU_DEP_2) | instskip(SKIP_1) | instid1(VALU_DEP_1)
	v_sub_f32_e32 v29, v29, v32
	v_sub_f32_e32 v36, v30, v36
	v_dual_sub_f32 v30, v30, v37 :: v_dual_sub_f32 v35, v35, v36
	s_delay_alu instid0(VALU_DEP_1) | instskip(NEXT) | instid1(VALU_DEP_2)
	v_add_f32_e32 v30, v31, v30
	v_add_f32_e32 v32, v35, v29
	s_delay_alu instid0(VALU_DEP_1) | instskip(NEXT) | instid1(VALU_DEP_3)
	v_sub_f32_e32 v31, v32, v35
	v_add_f32_e32 v30, v32, v30
	s_delay_alu instid0(VALU_DEP_2) | instskip(NEXT) | instid1(VALU_DEP_2)
	v_sub_f32_e32 v32, v32, v31
	v_add_f32_e32 v34, v33, v30
	v_sub_f32_e32 v29, v29, v31
	s_delay_alu instid0(VALU_DEP_2) | instskip(NEXT) | instid1(VALU_DEP_1)
	v_dual_sub_f32 v31, v35, v32 :: v_dual_sub_f32 v32, v34, v33
	v_dual_add_f32 v29, v29, v31 :: v_dual_sub_f32 v30, v30, v32
	v_cndmask_b32_e64 v31, s10, 1.0, vcc_lo
	s_delay_alu instid0(VALU_DEP_2) | instskip(NEXT) | instid1(VALU_DEP_2)
	v_add_f32_e32 v29, v29, v30
	v_cmp_gt_f32_e64 s3, 0, v31
	s_delay_alu instid0(VALU_DEP_2) | instskip(NEXT) | instid1(VALU_DEP_1)
	v_add_f32_e32 v30, v34, v29
	v_sub_f32_e32 v32, v30, v34
	v_mul_f32_e32 v33, v31, v30
	s_delay_alu instid0(VALU_DEP_2) | instskip(NEXT) | instid1(VALU_DEP_2)
	v_sub_f32_e32 v29, v29, v32
	v_fma_f32 v30, v31, v30, -v33
	v_cmp_class_f32_e64 s0, v33, 0x204
	s_delay_alu instid0(VALU_DEP_2) | instskip(NEXT) | instid1(VALU_DEP_1)
	v_fmac_f32_e32 v30, v31, v29
	v_add_f32_e32 v29, v33, v30
	s_delay_alu instid0(VALU_DEP_1) | instskip(SKIP_1) | instid1(VALU_DEP_2)
	v_cndmask_b32_e64 v32, v29, v33, s0
	v_sub_f32_e32 v29, v29, v33
	v_cmp_eq_f32_e64 s0, 0x42b17218, v32
	s_delay_alu instid0(VALU_DEP_2) | instskip(SKIP_2) | instid1(VALU_DEP_4)
	v_sub_f32_e32 v29, v30, v29
	v_cmp_neq_f32_e64 s1, 0x7f800000, |v32|
	v_trunc_f32_e32 v30, v31
	v_cndmask_b32_e64 v34, 0, 0x37000000, s0
	v_cmp_eq_f32_e64 s0, 0, v28
	s_delay_alu instid0(VALU_DEP_4) | instskip(NEXT) | instid1(VALU_DEP_3)
	v_cndmask_b32_e64 v29, 0, v29, s1
	v_sub_f32_e32 v35, v32, v34
	s_delay_alu instid0(VALU_DEP_1) | instskip(SKIP_1) | instid1(VALU_DEP_2)
	v_dual_add_f32 v29, v34, v29 :: v_dual_mul_f32 v36, 0x3fb8aa3b, v35
	v_cmp_ngt_f32_e64 s1, 0xc2ce8ed0, v35
	v_fma_f32 v37, 0x3fb8aa3b, v35, -v36
	v_rndne_f32_e32 v38, v36
	s_delay_alu instid0(VALU_DEP_1) | instskip(SKIP_1) | instid1(VALU_DEP_2)
	v_dual_fmac_f32 v37, 0x32a5705f, v35 :: v_dual_sub_f32 v36, v36, v38
	v_cvt_i32_f32_e32 v33, v38
	v_add_f32_e32 v36, v36, v37
	s_delay_alu instid0(VALU_DEP_1) | instskip(SKIP_3) | instid1(VALU_DEP_2)
	v_exp_f32_e32 v36, v36
	s_waitcnt_depctr 0xfff
	v_ldexp_f32 v33, v36, v33
	v_mul_f32_e32 v36, 0.5, v31
	v_cndmask_b32_e64 v32, 0, v33, s1
	v_cndmask_b32_e64 v33, |s10|, 1.0, vcc_lo
	s_delay_alu instid0(VALU_DEP_3) | instskip(SKIP_2) | instid1(VALU_DEP_3)
	v_trunc_f32_e32 v37, v36
	v_cmp_nlt_f32_e32 vcc_lo, 0x42b17218, v35
	v_cmp_eq_f32_e64 s1, v30, v31
	v_cmp_neq_f32_e64 s2, v37, v36
	v_cndmask_b32_e32 v32, 0x7f800000, v32, vcc_lo
	v_cmp_neq_f32_e32 vcc_lo, v31, v33
	s_delay_alu instid0(VALU_DEP_2)
	v_fma_f32 v29, v32, v29, v32
	s_xor_b32 s14, s14, vcc_lo
	s_and_b32 vcc_lo, s1, s2
	v_cmp_class_f32_e64 s1, v32, 0x204
	v_cndmask_b32_e64 v30, v33, 0, s14
	v_cndmask_b32_e32 v34, 1.0, v28, vcc_lo
	s_delay_alu instid0(VALU_DEP_3) | instskip(SKIP_1) | instid1(SALU_CYCLE_1)
	v_cndmask_b32_e64 v29, v29, v32, s1
	s_xor_b32 s1, s0, s3
	v_cndmask_b32_e64 v32, 0x7f800000, 0, s1
	v_cmp_eq_f32_e64 s1, |v28|, 1.0
	s_delay_alu instid0(VALU_DEP_3) | instskip(SKIP_2) | instid1(VALU_DEP_4)
	v_bfi_b32 v29, 0x7fffffff, v29, v34
	v_cndmask_b32_e32 v34, 0, v28, vcc_lo
	v_cmp_eq_f32_e32 vcc_lo, 0x7f800000, v33
	v_cndmask_b32_e64 v30, v30, |v28|, s1
	v_cmp_class_f32_e64 s1, v28, 0x204
	s_delay_alu instid0(VALU_DEP_2) | instskip(SKIP_1) | instid1(VALU_DEP_3)
	v_cndmask_b32_e32 v29, v29, v30, vcc_lo
	v_bfi_b32 v30, 0x7fffffff, v32, v34
	s_or_b32 vcc_lo, s0, s1
	s_delay_alu instid0(VALU_DEP_1) | instskip(SKIP_1) | instid1(VALU_DEP_2)
	v_cndmask_b32_e32 v29, v29, v30, vcc_lo
	v_cmp_o_f32_e32 vcc_lo, v31, v28
	v_cndmask_b32_e32 v28, 0x7fc00000, v29, vcc_lo
.LBB1_27:                               ;   in Loop: Header=BB1_28 Depth=1
	v_cvt_f32_u32_e32 v2, v2
	v_cvt_f32_u32_e32 v27, v27
	v_add_co_u32 v4, s0, v4, v6
	s_delay_alu instid0(VALU_DEP_1) | instskip(NEXT) | instid1(VALU_DEP_4)
	v_add_co_ci_u32_e64 v5, s0, v5, v7, s0
	v_dual_sub_f32 v29, v2, v11 :: v_dual_add_f32 v30, 1.0, v2
	v_cmp_gt_f32_e32 vcc_lo, v11, v2
	s_delay_alu instid0(VALU_DEP_2) | instskip(NEXT) | instid1(VALU_DEP_1)
	v_dual_add_f32 v29, 1.0, v29 :: v_dual_add_nc_u32 v0, 32, v0
	v_mul_f32_e32 v29, v29, v28
	s_delay_alu instid0(VALU_DEP_1) | instskip(NEXT) | instid1(VALU_DEP_1)
	v_dual_sub_f32 v31, v14, v30 :: v_dual_cndmask_b32 v2, v28, v29
	v_dual_sub_f32 v28, v27, v12 :: v_dual_add_f32 v31, 1.0, v31
	v_cmp_gt_f32_e32 vcc_lo, v30, v14
	s_delay_alu instid0(VALU_DEP_2) | instskip(NEXT) | instid1(VALU_DEP_1)
	v_dual_add_f32 v28, 1.0, v28 :: v_dual_mul_f32 v29, v31, v2
	v_dual_add_f32 v31, 1.0, v27 :: v_dual_cndmask_b32 v2, v2, v29
	s_delay_alu instid0(VALU_DEP_1) | instskip(SKIP_1) | instid1(VALU_DEP_3)
	v_sub_f32_e32 v29, v15, v31
	v_cmp_gt_f32_e32 vcc_lo, v12, v27
	v_mul_f32_e32 v28, v28, v2
	s_delay_alu instid0(VALU_DEP_1) | instskip(SKIP_2) | instid1(VALU_DEP_1)
	v_cndmask_b32_e32 v2, v2, v28, vcc_lo
	v_cmp_gt_f32_e32 vcc_lo, v31, v15
	v_add_f32_e32 v29, 1.0, v29
	v_mul_f32_e32 v27, v29, v2
	s_delay_alu instid0(VALU_DEP_1) | instskip(SKIP_1) | instid1(VALU_DEP_2)
	v_cndmask_b32_e32 v2, v2, v27, vcc_lo
	v_cmp_ge_u32_e32 vcc_lo, v0, v19
	v_fmac_f32_e32 v22, v2, v24
	v_dual_fmac_f32 v3, v2, v25 :: v_dual_add_f32 v20, v20, v2
	v_fmac_f32_e32 v21, v2, v26
	s_or_b32 s7, vcc_lo, s7
	s_delay_alu instid0(SALU_CYCLE_1)
	s_and_not1_b32 exec_lo, exec_lo, s7
	s_cbranch_execz .LBB1_30
.LBB1_28:                               ; =>This Inner Loop Header: Depth=1
	v_not_b32_e32 v2, v5
	v_mad_u64_u32 v[24:25], null, v23, v5, v[0:1]
	v_add_nc_u32_e32 v27, 1, v5
	s_delay_alu instid0(VALU_DEP_3) | instskip(NEXT) | instid1(VALU_DEP_3)
	v_mad_u64_u32 v[25:26], null, v18, v2, v[0:1]
	v_cmp_ge_u32_e32 vcc_lo, v24, v18
	s_delay_alu instid0(VALU_DEP_3) | instskip(NEXT) | instid1(VALU_DEP_1)
	v_cndmask_b32_e32 v2, v5, v27, vcc_lo
	v_dual_cndmask_b32 v24, v24, v25 :: v_dual_add_nc_u32 v25, 1, v2
	s_delay_alu instid0(VALU_DEP_1) | instskip(NEXT) | instid1(VALU_DEP_2)
	v_cmp_ge_u32_e32 vcc_lo, v24, v18
	v_cndmask_b32_e32 v2, v2, v25, vcc_lo
	s_delay_alu instid0(VALU_DEP_1) | instskip(SKIP_1) | instid1(VALU_DEP_2)
	v_mul_lo_u32 v24, v23, v2
	v_add_nc_u32_e32 v27, v2, v17
	v_add3_u32 v2, v16, v0, v24
	s_delay_alu instid0(VALU_DEP_1) | instskip(NEXT) | instid1(VALU_DEP_1)
	v_mad_u64_u32 v[24:25], null, v27, s6, v[2:3]
	v_mad_u64_u32 v[25:26], null, v24, 3, s[16:17]
	s_clause 0x1
	global_load_u16 v28, v[25:26], off
	global_load_u8 v26, v[25:26], off offset:2
	s_waitcnt vmcnt(1)
	v_cvt_f32_ubyte1_e32 v24, v28
	v_cvt_f32_ubyte0_e32 v25, v28
	s_waitcnt vmcnt(0)
	v_cvt_f32_ubyte0_e32 v26, v26
	s_delay_alu instid0(VALU_DEP_2) | instskip(NEXT) | instid1(VALU_DEP_2)
	v_dual_sub_f32 v28, v9, v24 :: v_dual_sub_f32 v29, v8, v25
	v_sub_f32_e32 v30, v10, v26
	s_delay_alu instid0(VALU_DEP_2) | instskip(NEXT) | instid1(VALU_DEP_1)
	v_mul_f32_e32 v28, v28, v28
	v_fmac_f32_e32 v28, v29, v29
	s_delay_alu instid0(VALU_DEP_1) | instskip(NEXT) | instid1(VALU_DEP_1)
	v_fmac_f32_e32 v28, v30, v30
	v_mul_f32_e32 v29, 0x4f800000, v28
	v_cmp_gt_f32_e32 vcc_lo, 0xf800000, v28
	s_delay_alu instid0(VALU_DEP_2) | instskip(NEXT) | instid1(VALU_DEP_1)
	v_cndmask_b32_e32 v28, v28, v29, vcc_lo
	v_sqrt_f32_e32 v29, v28
	s_waitcnt_depctr 0xfff
	v_add_nc_u32_e32 v30, -1, v29
	v_add_nc_u32_e32 v31, 1, v29
	s_delay_alu instid0(VALU_DEP_2) | instskip(NEXT) | instid1(VALU_DEP_2)
	v_fma_f32 v32, -v30, v29, v28
	v_fma_f32 v33, -v31, v29, v28
	s_delay_alu instid0(VALU_DEP_2) | instskip(NEXT) | instid1(VALU_DEP_1)
	v_cmp_ge_f32_e64 s0, 0, v32
	v_cndmask_b32_e64 v29, v29, v30, s0
	s_delay_alu instid0(VALU_DEP_3) | instskip(NEXT) | instid1(VALU_DEP_1)
	v_cmp_lt_f32_e64 s0, 0, v33
	v_cndmask_b32_e64 v29, v29, v31, s0
	s_delay_alu instid0(VALU_DEP_1) | instskip(NEXT) | instid1(VALU_DEP_1)
	v_mul_f32_e32 v30, 0x37800000, v29
	v_cndmask_b32_e32 v29, v29, v30, vcc_lo
	v_cmp_class_f32_e64 vcc_lo, v28, 0x260
	s_delay_alu instid0(VALU_DEP_2) | instskip(NEXT) | instid1(VALU_DEP_1)
	v_cndmask_b32_e32 v28, v29, v28, vcc_lo
	v_div_scale_f32 v29, null, 0x43dcd623, 0x43dcd623, v28
	s_delay_alu instid0(VALU_DEP_1) | instskip(SKIP_2) | instid1(VALU_DEP_1)
	v_rcp_f32_e32 v30, v29
	s_waitcnt_depctr 0xfff
	v_fma_f32 v31, -v29, v30, 1.0
	v_fmac_f32_e32 v30, v31, v30
	v_div_scale_f32 v31, vcc_lo, v28, 0x43dcd623, v28
	s_delay_alu instid0(VALU_DEP_1) | instskip(NEXT) | instid1(VALU_DEP_1)
	v_mul_f32_e32 v32, v31, v30
	v_fma_f32 v33, -v29, v32, v31
	s_delay_alu instid0(VALU_DEP_1) | instskip(NEXT) | instid1(VALU_DEP_1)
	v_fmac_f32_e32 v32, v33, v30
	v_fma_f32 v29, -v29, v32, v31
	s_delay_alu instid0(VALU_DEP_1) | instskip(SKIP_1) | instid1(VALU_DEP_1)
	v_div_fmas_f32 v29, v29, v30, v32
	s_and_not1_b32 vcc_lo, exec_lo, s9
	v_div_fixup_f32 v28, v29, 0x43dcd623, v28
	s_cbranch_vccz .LBB1_26
; %bb.29:                               ;   in Loop: Header=BB1_28 Depth=1
	s_delay_alu instid0(VALU_DEP_1)
	v_cndmask_b32_e64 v28, v28, 1.0, s8
	s_branch .LBB1_27
.LBB1_30:
	s_or_b32 exec_lo, exec_lo, s7
.LBB1_31:
	s_delay_alu instid0(SALU_CYCLE_1) | instskip(SKIP_1) | instid1(VALU_DEP_1)
	s_or_b32 exec_lo, exec_lo, s5
	v_mbcnt_lo_u32_b32 v0, -1, 0
	v_cmp_gt_u32_e32 vcc_lo, 16, v0
	v_cndmask_b32_e64 v2, 0, 1, vcc_lo
	v_cmp_gt_u32_e32 vcc_lo, 24, v0
	s_delay_alu instid0(VALU_DEP_2) | instskip(SKIP_2) | instid1(VALU_DEP_3)
	v_lshlrev_b32_e32 v2, 4, v2
	v_cndmask_b32_e64 v7, 0, 1, vcc_lo
	v_cmp_gt_u32_e32 vcc_lo, 28, v0
	v_add_lshl_u32 v2, v2, v0, 2
	v_cndmask_b32_e64 v14, 0, 1, vcc_lo
	v_cmp_gt_u32_e32 vcc_lo, 30, v0
	ds_bpermute_b32 v4, v2, v3
	ds_bpermute_b32 v5, v2, v22
	v_lshlrev_b32_e32 v7, 3, v7
	ds_bpermute_b32 v6, v2, v21
	ds_bpermute_b32 v2, v2, v20
	s_waitcnt lgkmcnt(2)
	v_dual_add_f32 v3, v3, v4 :: v_dual_add_f32 v4, v22, v5
	v_add_lshl_u32 v7, v7, v0, 2
	ds_bpermute_b32 v11, v7, v4
	s_waitcnt lgkmcnt(2)
	v_add_f32_e32 v5, v21, v6
	ds_bpermute_b32 v6, v7, v3
	s_waitcnt lgkmcnt(1)
	v_add_f32_e32 v4, v4, v11
	ds_bpermute_b32 v12, v7, v5
	s_waitcnt lgkmcnt(0)
	v_dual_add_f32 v2, v20, v2 :: v_dual_add_f32 v5, v5, v12
	ds_bpermute_b32 v7, v7, v2
	v_lshlrev_b32_e32 v14, 2, v14
	v_add_f32_e32 v3, v3, v6
	s_delay_alu instid0(VALU_DEP_2)
	v_add_lshl_u32 v14, v14, v0, 2
	ds_bpermute_b32 v11, v14, v5
	s_waitcnt lgkmcnt(1)
	v_add_f32_e32 v2, v2, v7
	ds_bpermute_b32 v6, v14, v3
	ds_bpermute_b32 v7, v14, v4
	;; [unrolled: 1-line block ×3, first 2 shown]
	v_cndmask_b32_e64 v14, 0, 1, vcc_lo
	v_cmp_ne_u32_e32 vcc_lo, 31, v0
	s_waitcnt lgkmcnt(3)
	v_add_f32_e32 v5, v5, v11
	s_waitcnt lgkmcnt(1)
	v_dual_add_f32 v3, v3, v6 :: v_dual_add_f32 v4, v4, v7
	v_lshlrev_b32_e32 v14, 1, v14
	s_waitcnt lgkmcnt(0)
	v_add_f32_e32 v6, v2, v12
	s_delay_alu instid0(VALU_DEP_2)
	v_add_lshl_u32 v14, v14, v0, 2
	v_add_co_ci_u32_e32 v0, vcc_lo, 0, v0, vcc_lo
	v_cmp_eq_u32_e32 vcc_lo, 0, v13
	ds_bpermute_b32 v2, v14, v3
	ds_bpermute_b32 v7, v14, v4
	;; [unrolled: 1-line block ×4, first 2 shown]
	v_lshlrev_b32_e32 v14, 2, v0
	s_waitcnt lgkmcnt(2)
	v_dual_add_f32 v2, v3, v2 :: v_dual_add_f32 v3, v4, v7
	s_waitcnt lgkmcnt(1)
	v_add_f32_e32 v4, v5, v11
	s_waitcnt lgkmcnt(0)
	v_add_f32_e32 v0, v6, v12
	ds_bpermute_b32 v5, v14, v2
	ds_bpermute_b32 v6, v14, v3
	;; [unrolled: 1-line block ×4, first 2 shown]
	s_and_b32 exec_lo, exec_lo, vcc_lo
	s_cbranch_execz .LBB1_35
; %bb.32:
	s_waitcnt lgkmcnt(0)
	v_add_f32_e32 v0, v0, v11
	s_mov_b32 s2, exec_lo
	s_delay_alu instid0(VALU_DEP_1)
	v_cmpx_neq_f32_e32 0, v0
	s_cbranch_execz .LBB1_34
; %bb.33:
	v_dual_add_f32 v2, v2, v5 :: v_dual_add_f32 v3, v3, v6
	s_delay_alu instid0(VALU_DEP_1) | instskip(NEXT) | instid1(VALU_DEP_2)
	v_div_scale_f32 v5, null, v0, v0, v2
	v_div_scale_f32 v6, null, v0, v0, v3
	v_div_scale_f32 v11, vcc_lo, v2, v0, v2
	s_delay_alu instid0(VALU_DEP_3) | instskip(NEXT) | instid1(VALU_DEP_2)
	v_rcp_f32_e32 v8, v5
	v_rcp_f32_e32 v9, v6
	v_div_scale_f32 v12, s0, v3, v0, v3
	s_waitcnt_depctr 0xfff
	v_fma_f32 v13, -v5, v8, 1.0
	v_fma_f32 v14, -v6, v9, 1.0
	s_delay_alu instid0(VALU_DEP_1) | instskip(NEXT) | instid1(VALU_DEP_1)
	v_dual_add_f32 v4, v4, v7 :: v_dual_fmac_f32 v9, v14, v9
	v_div_scale_f32 v7, null, v0, v0, v4
	v_div_scale_f32 v16, s1, v4, v0, v4
	s_delay_alu instid0(VALU_DEP_3) | instskip(NEXT) | instid1(VALU_DEP_3)
	v_mul_f32_e32 v14, v12, v9
	v_rcp_f32_e32 v10, v7
	s_delay_alu instid0(VALU_DEP_1) | instskip(SKIP_2) | instid1(VALU_DEP_1)
	v_fma_f32 v18, -v6, v14, v12
	s_waitcnt_depctr 0xfff
	v_fma_f32 v15, -v7, v10, 1.0
	v_fmac_f32_e32 v10, v15, v10
	s_delay_alu instid0(VALU_DEP_1) | instskip(NEXT) | instid1(VALU_DEP_1)
	v_dual_fmac_f32 v8, v13, v8 :: v_dual_mul_f32 v15, v16, v10
	v_mul_f32_e32 v13, v11, v8
	s_delay_alu instid0(VALU_DEP_2) | instskip(NEXT) | instid1(VALU_DEP_2)
	v_fma_f32 v19, -v7, v15, v16
	v_fma_f32 v17, -v5, v13, v11
	s_delay_alu instid0(VALU_DEP_1) | instskip(NEXT) | instid1(VALU_DEP_3)
	v_dual_fmac_f32 v13, v17, v8 :: v_dual_fmac_f32 v14, v18, v9
	v_fmac_f32_e32 v15, v19, v10
	s_delay_alu instid0(VALU_DEP_2) | instskip(NEXT) | instid1(VALU_DEP_3)
	v_fma_f32 v5, -v5, v13, v11
	v_fma_f32 v6, -v6, v14, v12
	s_delay_alu instid0(VALU_DEP_3) | instskip(NEXT) | instid1(VALU_DEP_3)
	v_fma_f32 v7, -v7, v15, v16
	v_div_fmas_f32 v5, v5, v8, v13
	s_mov_b32 vcc_lo, s0
	s_delay_alu instid0(VALU_DEP_3) | instskip(SKIP_1) | instid1(VALU_DEP_2)
	v_div_fmas_f32 v6, v6, v9, v14
	s_mov_b32 vcc_lo, s1
	v_div_fixup_f32 v8, v5, v0, v2
	v_div_fmas_f32 v7, v7, v10, v15
	s_delay_alu instid0(VALU_DEP_3) | instskip(NEXT) | instid1(VALU_DEP_2)
	v_div_fixup_f32 v9, v6, v0, v3
	v_div_fixup_f32 v10, v7, v0, v4
.LBB1_34:
	s_or_b32 exec_lo, exec_lo, s2
	v_mad_u64_u32 v[2:3], null, s4, s15, v[1:2]
	v_cvt_i32_f32_e32 v3, v8
	v_cvt_i32_f32_e32 v4, v9
	s_delay_alu instid0(VALU_DEP_1) | instskip(NEXT) | instid1(VALU_DEP_4)
	v_lshl_or_b32 v3, v4, 8, v3
	v_mad_u64_u32 v[0:1], null, v2, 3, s[12:13]
	v_cvt_i32_f32_e32 v2, v10
	s_clause 0x1
	global_store_b8 v[0:1], v2, off offset:2
	global_store_b16 v[0:1], v3, off
.LBB1_35:
	s_nop 0
	s_sendmsg sendmsg(MSG_DEALLOC_VGPRS)
	s_endpgm
	.section	.rodata,"a",@progbits
	.p2align	6, 0x0
	.amdhsa_kernel _Z18kernelDownsamplingPK15HIP_vector_typeIhLj3EES2_6ParamsPS0_
		.amdhsa_group_segment_fixed_size 0
		.amdhsa_private_segment_fixed_size 0
		.amdhsa_kernarg_size 56
		.amdhsa_user_sgpr_count 14
		.amdhsa_user_sgpr_dispatch_ptr 0
		.amdhsa_user_sgpr_queue_ptr 0
		.amdhsa_user_sgpr_kernarg_segment_ptr 1
		.amdhsa_user_sgpr_dispatch_id 0
		.amdhsa_user_sgpr_private_segment_size 0
		.amdhsa_wavefront_size32 1
		.amdhsa_uses_dynamic_stack 0
		.amdhsa_enable_private_segment 0
		.amdhsa_system_sgpr_workgroup_id_x 1
		.amdhsa_system_sgpr_workgroup_id_y 1
		.amdhsa_system_sgpr_workgroup_id_z 0
		.amdhsa_system_sgpr_workgroup_info 0
		.amdhsa_system_vgpr_workitem_id 0
		.amdhsa_next_free_vgpr 40
		.amdhsa_next_free_sgpr 18
		.amdhsa_reserve_vcc 1
		.amdhsa_float_round_mode_32 0
		.amdhsa_float_round_mode_16_64 0
		.amdhsa_float_denorm_mode_32 3
		.amdhsa_float_denorm_mode_16_64 3
		.amdhsa_dx10_clamp 1
		.amdhsa_ieee_mode 1
		.amdhsa_fp16_overflow 0
		.amdhsa_workgroup_processor_mode 1
		.amdhsa_memory_ordered 1
		.amdhsa_forward_progress 0
		.amdhsa_shared_vgpr_count 0
		.amdhsa_exception_fp_ieee_invalid_op 0
		.amdhsa_exception_fp_denorm_src 0
		.amdhsa_exception_fp_ieee_div_zero 0
		.amdhsa_exception_fp_ieee_overflow 0
		.amdhsa_exception_fp_ieee_underflow 0
		.amdhsa_exception_fp_ieee_inexact 0
		.amdhsa_exception_int_div_zero 0
	.end_amdhsa_kernel
	.text
.Lfunc_end1:
	.size	_Z18kernelDownsamplingPK15HIP_vector_typeIhLj3EES2_6ParamsPS0_, .Lfunc_end1-_Z18kernelDownsamplingPK15HIP_vector_typeIhLj3EES2_6ParamsPS0_
                                        ; -- End function
	.section	.AMDGPU.csdata,"",@progbits
; Kernel info:
; codeLenInByte = 4144
; NumSgprs: 20
; NumVgprs: 40
; ScratchSize: 0
; MemoryBound: 0
; FloatMode: 240
; IeeeMode: 1
; LDSByteSize: 0 bytes/workgroup (compile time only)
; SGPRBlocks: 2
; VGPRBlocks: 4
; NumSGPRsForWavesPerEU: 20
; NumVGPRsForWavesPerEU: 40
; Occupancy: 16
; WaveLimiterHint : 0
; COMPUTE_PGM_RSRC2:SCRATCH_EN: 0
; COMPUTE_PGM_RSRC2:USER_SGPR: 14
; COMPUTE_PGM_RSRC2:TRAP_HANDLER: 0
; COMPUTE_PGM_RSRC2:TGID_X_EN: 1
; COMPUTE_PGM_RSRC2:TGID_Y_EN: 1
; COMPUTE_PGM_RSRC2:TGID_Z_EN: 0
; COMPUTE_PGM_RSRC2:TIDIG_COMP_CNT: 0
	.text
	.p2alignl 7, 3214868480
	.fill 96, 4, 3214868480
	.type	__hip_cuid_68b42439d407ca5d,@object ; @__hip_cuid_68b42439d407ca5d
	.section	.bss,"aw",@nobits
	.globl	__hip_cuid_68b42439d407ca5d
__hip_cuid_68b42439d407ca5d:
	.byte	0                               ; 0x0
	.size	__hip_cuid_68b42439d407ca5d, 1

	.ident	"AMD clang version 19.0.0git (https://github.com/RadeonOpenCompute/llvm-project roc-6.4.0 25133 c7fe45cf4b819c5991fe208aaa96edf142730f1d)"
	.section	".note.GNU-stack","",@progbits
	.addrsig
	.addrsig_sym __hip_cuid_68b42439d407ca5d
	.amdgpu_metadata
---
amdhsa.kernels:
  - .args:
      - .actual_access:  read_only
        .address_space:  global
        .offset:         0
        .size:           8
        .value_kind:     global_buffer
      - .actual_access:  write_only
        .address_space:  global
        .offset:         8
        .size:           8
        .value_kind:     global_buffer
      - .offset:         16
        .size:           32
        .value_kind:     by_value
    .group_segment_fixed_size: 0
    .kernarg_segment_align: 8
    .kernarg_segment_size: 48
    .language:       OpenCL C
    .language_version:
      - 2
      - 0
    .max_flat_workgroup_size: 1024
    .name:           _Z14kernelGuidancePK15HIP_vector_typeIhLj3EEPS0_6Params
    .private_segment_fixed_size: 0
    .sgpr_count:     18
    .sgpr_spill_count: 0
    .symbol:         _Z14kernelGuidancePK15HIP_vector_typeIhLj3EEPS0_6Params.kd
    .uniform_work_group_size: 1
    .uses_dynamic_stack: false
    .vgpr_count:     29
    .vgpr_spill_count: 0
    .wavefront_size: 32
    .workgroup_processor_mode: 1
  - .args:
      - .actual_access:  read_only
        .address_space:  global
        .offset:         0
        .size:           8
        .value_kind:     global_buffer
      - .actual_access:  read_only
        .address_space:  global
        .offset:         8
        .size:           8
        .value_kind:     global_buffer
      - .offset:         16
        .size:           32
        .value_kind:     by_value
      - .actual_access:  write_only
        .address_space:  global
        .offset:         48
        .size:           8
        .value_kind:     global_buffer
    .group_segment_fixed_size: 0
    .kernarg_segment_align: 8
    .kernarg_segment_size: 56
    .language:       OpenCL C
    .language_version:
      - 2
      - 0
    .max_flat_workgroup_size: 1024
    .name:           _Z18kernelDownsamplingPK15HIP_vector_typeIhLj3EES2_6ParamsPS0_
    .private_segment_fixed_size: 0
    .sgpr_count:     20
    .sgpr_spill_count: 0
    .symbol:         _Z18kernelDownsamplingPK15HIP_vector_typeIhLj3EES2_6ParamsPS0_.kd
    .uniform_work_group_size: 1
    .uses_dynamic_stack: false
    .vgpr_count:     40
    .vgpr_spill_count: 0
    .wavefront_size: 32
    .workgroup_processor_mode: 1
amdhsa.target:   amdgcn-amd-amdhsa--gfx1100
amdhsa.version:
  - 1
  - 2
...

	.end_amdgpu_metadata
